;; amdgpu-corpus repo=ROCm/rocFFT kind=compiled arch=gfx1100 opt=O3
	.text
	.amdgcn_target "amdgcn-amd-amdhsa--gfx1100"
	.amdhsa_code_object_version 6
	.protected	fft_rtc_fwd_len363_factors_11_3_11_wgs_99_tpt_33_halfLds_half_op_CI_CI_unitstride_sbrr_dirReg ; -- Begin function fft_rtc_fwd_len363_factors_11_3_11_wgs_99_tpt_33_halfLds_half_op_CI_CI_unitstride_sbrr_dirReg
	.globl	fft_rtc_fwd_len363_factors_11_3_11_wgs_99_tpt_33_halfLds_half_op_CI_CI_unitstride_sbrr_dirReg
	.p2align	8
	.type	fft_rtc_fwd_len363_factors_11_3_11_wgs_99_tpt_33_halfLds_half_op_CI_CI_unitstride_sbrr_dirReg,@function
fft_rtc_fwd_len363_factors_11_3_11_wgs_99_tpt_33_halfLds_half_op_CI_CI_unitstride_sbrr_dirReg: ; @fft_rtc_fwd_len363_factors_11_3_11_wgs_99_tpt_33_halfLds_half_op_CI_CI_unitstride_sbrr_dirReg
; %bb.0:
	s_load_b128 s[8:11], s[0:1], 0x0
	v_mul_u32_u24_e32 v1, 0x7c2, v0
	s_clause 0x1
	s_load_b128 s[4:7], s[0:1], 0x58
	s_load_b128 s[16:19], s[0:1], 0x18
	v_mov_b32_e32 v3, 0
	v_mov_b32_e32 v11, 0
	;; [unrolled: 1-line block ×3, first 2 shown]
	v_lshrrev_b32_e32 v1, 16, v1
	s_delay_alu instid0(VALU_DEP_1) | instskip(SKIP_1) | instid1(VALU_DEP_4)
	v_mad_u64_u32 v[9:10], null, s15, 3, v[1:2]
	v_mov_b32_e32 v10, v3
	v_dual_mov_b32 v1, v11 :: v_dual_mov_b32 v2, v12
	s_delay_alu instid0(VALU_DEP_2) | instskip(SKIP_2) | instid1(VALU_DEP_1)
	v_dual_mov_b32 v5, v9 :: v_dual_mov_b32 v6, v10
	s_waitcnt lgkmcnt(0)
	v_cmp_lt_u64_e64 s2, s[10:11], 2
	s_and_b32 vcc_lo, exec_lo, s2
	s_cbranch_vccnz .LBB0_8
; %bb.1:
	s_load_b64 s[2:3], s[0:1], 0x10
	v_mov_b32_e32 v11, 0
	v_dual_mov_b32 v12, 0 :: v_dual_mov_b32 v7, v9
	s_add_u32 s12, s18, 8
	s_addc_u32 s13, s19, 0
	v_mov_b32_e32 v8, v10
	s_add_u32 s14, s16, 8
	v_dual_mov_b32 v1, v11 :: v_dual_mov_b32 v2, v12
	s_addc_u32 s15, s17, 0
	s_mov_b64 s[22:23], 1
	s_waitcnt lgkmcnt(0)
	s_add_u32 s20, s2, 8
	s_addc_u32 s21, s3, 0
.LBB0_2:                                ; =>This Inner Loop Header: Depth=1
	s_load_b64 s[24:25], s[20:21], 0x0
                                        ; implicit-def: $vgpr5_vgpr6
	s_mov_b32 s2, exec_lo
	s_waitcnt lgkmcnt(0)
	v_or_b32_e32 v4, s25, v8
	s_delay_alu instid0(VALU_DEP_1)
	v_cmpx_ne_u64_e32 0, v[3:4]
	s_xor_b32 s3, exec_lo, s2
	s_cbranch_execz .LBB0_4
; %bb.3:                                ;   in Loop: Header=BB0_2 Depth=1
	v_cvt_f32_u32_e32 v4, s24
	v_cvt_f32_u32_e32 v5, s25
	s_sub_u32 s2, 0, s24
	s_subb_u32 s26, 0, s25
	s_delay_alu instid0(VALU_DEP_1) | instskip(NEXT) | instid1(VALU_DEP_1)
	v_fmac_f32_e32 v4, 0x4f800000, v5
	v_rcp_f32_e32 v4, v4
	s_waitcnt_depctr 0xfff
	v_mul_f32_e32 v4, 0x5f7ffffc, v4
	s_delay_alu instid0(VALU_DEP_1) | instskip(NEXT) | instid1(VALU_DEP_1)
	v_mul_f32_e32 v5, 0x2f800000, v4
	v_trunc_f32_e32 v5, v5
	s_delay_alu instid0(VALU_DEP_1) | instskip(SKIP_1) | instid1(VALU_DEP_2)
	v_fmac_f32_e32 v4, 0xcf800000, v5
	v_cvt_u32_f32_e32 v5, v5
	v_cvt_u32_f32_e32 v4, v4
	s_delay_alu instid0(VALU_DEP_2) | instskip(NEXT) | instid1(VALU_DEP_2)
	v_mul_lo_u32 v6, s2, v5
	v_mul_hi_u32 v10, s2, v4
	v_mul_lo_u32 v13, s26, v4
	s_delay_alu instid0(VALU_DEP_2) | instskip(SKIP_1) | instid1(VALU_DEP_2)
	v_add_nc_u32_e32 v6, v10, v6
	v_mul_lo_u32 v10, s2, v4
	v_add_nc_u32_e32 v6, v6, v13
	s_delay_alu instid0(VALU_DEP_2) | instskip(NEXT) | instid1(VALU_DEP_2)
	v_mul_hi_u32 v13, v4, v10
	v_mul_lo_u32 v14, v4, v6
	v_mul_hi_u32 v15, v4, v6
	v_mul_hi_u32 v16, v5, v10
	v_mul_lo_u32 v10, v5, v10
	v_mul_hi_u32 v17, v5, v6
	v_mul_lo_u32 v6, v5, v6
	v_add_co_u32 v13, vcc_lo, v13, v14
	v_add_co_ci_u32_e32 v14, vcc_lo, 0, v15, vcc_lo
	s_delay_alu instid0(VALU_DEP_2) | instskip(NEXT) | instid1(VALU_DEP_2)
	v_add_co_u32 v10, vcc_lo, v13, v10
	v_add_co_ci_u32_e32 v10, vcc_lo, v14, v16, vcc_lo
	v_add_co_ci_u32_e32 v13, vcc_lo, 0, v17, vcc_lo
	s_delay_alu instid0(VALU_DEP_2) | instskip(NEXT) | instid1(VALU_DEP_2)
	v_add_co_u32 v6, vcc_lo, v10, v6
	v_add_co_ci_u32_e32 v10, vcc_lo, 0, v13, vcc_lo
	s_delay_alu instid0(VALU_DEP_2) | instskip(NEXT) | instid1(VALU_DEP_2)
	v_add_co_u32 v4, vcc_lo, v4, v6
	v_add_co_ci_u32_e32 v5, vcc_lo, v5, v10, vcc_lo
	s_delay_alu instid0(VALU_DEP_2) | instskip(SKIP_1) | instid1(VALU_DEP_3)
	v_mul_hi_u32 v6, s2, v4
	v_mul_lo_u32 v13, s26, v4
	v_mul_lo_u32 v10, s2, v5
	s_delay_alu instid0(VALU_DEP_1) | instskip(SKIP_1) | instid1(VALU_DEP_2)
	v_add_nc_u32_e32 v6, v6, v10
	v_mul_lo_u32 v10, s2, v4
	v_add_nc_u32_e32 v6, v6, v13
	s_delay_alu instid0(VALU_DEP_2) | instskip(NEXT) | instid1(VALU_DEP_2)
	v_mul_hi_u32 v13, v4, v10
	v_mul_lo_u32 v14, v4, v6
	v_mul_hi_u32 v15, v4, v6
	v_mul_hi_u32 v16, v5, v10
	v_mul_lo_u32 v10, v5, v10
	v_mul_hi_u32 v17, v5, v6
	v_mul_lo_u32 v6, v5, v6
	v_add_co_u32 v13, vcc_lo, v13, v14
	v_add_co_ci_u32_e32 v14, vcc_lo, 0, v15, vcc_lo
	s_delay_alu instid0(VALU_DEP_2) | instskip(NEXT) | instid1(VALU_DEP_2)
	v_add_co_u32 v10, vcc_lo, v13, v10
	v_add_co_ci_u32_e32 v10, vcc_lo, v14, v16, vcc_lo
	v_add_co_ci_u32_e32 v13, vcc_lo, 0, v17, vcc_lo
	s_delay_alu instid0(VALU_DEP_2) | instskip(NEXT) | instid1(VALU_DEP_2)
	v_add_co_u32 v6, vcc_lo, v10, v6
	v_add_co_ci_u32_e32 v10, vcc_lo, 0, v13, vcc_lo
	s_delay_alu instid0(VALU_DEP_2) | instskip(NEXT) | instid1(VALU_DEP_2)
	v_add_co_u32 v6, vcc_lo, v4, v6
	v_add_co_ci_u32_e32 v10, vcc_lo, v5, v10, vcc_lo
	s_delay_alu instid0(VALU_DEP_2) | instskip(SKIP_1) | instid1(VALU_DEP_3)
	v_mul_hi_u32 v17, v7, v6
	v_mad_u64_u32 v[13:14], null, v8, v6, 0
	v_mad_u64_u32 v[4:5], null, v7, v10, 0
	v_mad_u64_u32 v[15:16], null, v8, v10, 0
	s_delay_alu instid0(VALU_DEP_2) | instskip(NEXT) | instid1(VALU_DEP_3)
	v_add_co_u32 v4, vcc_lo, v17, v4
	v_add_co_ci_u32_e32 v5, vcc_lo, 0, v5, vcc_lo
	s_delay_alu instid0(VALU_DEP_2) | instskip(NEXT) | instid1(VALU_DEP_2)
	v_add_co_u32 v4, vcc_lo, v4, v13
	v_add_co_ci_u32_e32 v4, vcc_lo, v5, v14, vcc_lo
	v_add_co_ci_u32_e32 v5, vcc_lo, 0, v16, vcc_lo
	s_delay_alu instid0(VALU_DEP_2) | instskip(NEXT) | instid1(VALU_DEP_2)
	v_add_co_u32 v10, vcc_lo, v4, v15
	v_add_co_ci_u32_e32 v6, vcc_lo, 0, v5, vcc_lo
	s_delay_alu instid0(VALU_DEP_2) | instskip(SKIP_1) | instid1(VALU_DEP_3)
	v_mul_lo_u32 v13, s25, v10
	v_mad_u64_u32 v[4:5], null, s24, v10, 0
	v_mul_lo_u32 v14, s24, v6
	s_delay_alu instid0(VALU_DEP_2) | instskip(NEXT) | instid1(VALU_DEP_2)
	v_sub_co_u32 v4, vcc_lo, v7, v4
	v_add3_u32 v5, v5, v14, v13
	s_delay_alu instid0(VALU_DEP_1) | instskip(NEXT) | instid1(VALU_DEP_1)
	v_sub_nc_u32_e32 v13, v8, v5
	v_subrev_co_ci_u32_e64 v13, s2, s25, v13, vcc_lo
	v_add_co_u32 v14, s2, v10, 2
	s_delay_alu instid0(VALU_DEP_1) | instskip(SKIP_3) | instid1(VALU_DEP_3)
	v_add_co_ci_u32_e64 v15, s2, 0, v6, s2
	v_sub_co_u32 v16, s2, v4, s24
	v_sub_co_ci_u32_e32 v5, vcc_lo, v8, v5, vcc_lo
	v_subrev_co_ci_u32_e64 v13, s2, 0, v13, s2
	v_cmp_le_u32_e32 vcc_lo, s24, v16
	s_delay_alu instid0(VALU_DEP_3) | instskip(SKIP_1) | instid1(VALU_DEP_4)
	v_cmp_eq_u32_e64 s2, s25, v5
	v_cndmask_b32_e64 v16, 0, -1, vcc_lo
	v_cmp_le_u32_e32 vcc_lo, s25, v13
	v_cndmask_b32_e64 v17, 0, -1, vcc_lo
	v_cmp_le_u32_e32 vcc_lo, s24, v4
	;; [unrolled: 2-line block ×3, first 2 shown]
	v_cndmask_b32_e64 v18, 0, -1, vcc_lo
	v_cmp_eq_u32_e32 vcc_lo, s25, v13
	s_delay_alu instid0(VALU_DEP_2) | instskip(SKIP_3) | instid1(VALU_DEP_3)
	v_cndmask_b32_e64 v4, v18, v4, s2
	v_cndmask_b32_e32 v13, v17, v16, vcc_lo
	v_add_co_u32 v16, vcc_lo, v10, 1
	v_add_co_ci_u32_e32 v17, vcc_lo, 0, v6, vcc_lo
	v_cmp_ne_u32_e32 vcc_lo, 0, v13
	s_delay_alu instid0(VALU_DEP_3) | instskip(NEXT) | instid1(VALU_DEP_3)
	v_cndmask_b32_e32 v13, v16, v14, vcc_lo
	v_cndmask_b32_e32 v5, v17, v15, vcc_lo
	v_cmp_ne_u32_e32 vcc_lo, 0, v4
	s_delay_alu instid0(VALU_DEP_2) | instskip(NEXT) | instid1(VALU_DEP_4)
	v_cndmask_b32_e32 v6, v6, v5, vcc_lo
	v_cndmask_b32_e32 v5, v10, v13, vcc_lo
.LBB0_4:                                ;   in Loop: Header=BB0_2 Depth=1
	s_and_not1_saveexec_b32 s2, s3
	s_cbranch_execz .LBB0_6
; %bb.5:                                ;   in Loop: Header=BB0_2 Depth=1
	v_cvt_f32_u32_e32 v4, s24
	s_sub_i32 s3, 0, s24
	s_delay_alu instid0(VALU_DEP_1) | instskip(SKIP_2) | instid1(VALU_DEP_1)
	v_rcp_iflag_f32_e32 v4, v4
	s_waitcnt_depctr 0xfff
	v_mul_f32_e32 v4, 0x4f7ffffe, v4
	v_cvt_u32_f32_e32 v4, v4
	s_delay_alu instid0(VALU_DEP_1) | instskip(NEXT) | instid1(VALU_DEP_1)
	v_mul_lo_u32 v5, s3, v4
	v_mul_hi_u32 v5, v4, v5
	s_delay_alu instid0(VALU_DEP_1) | instskip(NEXT) | instid1(VALU_DEP_1)
	v_add_nc_u32_e32 v4, v4, v5
	v_mul_hi_u32 v4, v7, v4
	s_delay_alu instid0(VALU_DEP_1) | instskip(SKIP_1) | instid1(VALU_DEP_2)
	v_mul_lo_u32 v5, v4, s24
	v_add_nc_u32_e32 v6, 1, v4
	v_sub_nc_u32_e32 v5, v7, v5
	s_delay_alu instid0(VALU_DEP_1) | instskip(SKIP_1) | instid1(VALU_DEP_2)
	v_subrev_nc_u32_e32 v10, s24, v5
	v_cmp_le_u32_e32 vcc_lo, s24, v5
	v_cndmask_b32_e32 v5, v5, v10, vcc_lo
	v_cndmask_b32_e32 v4, v4, v6, vcc_lo
	s_delay_alu instid0(VALU_DEP_2) | instskip(NEXT) | instid1(VALU_DEP_2)
	v_cmp_le_u32_e32 vcc_lo, s24, v5
	v_add_nc_u32_e32 v6, 1, v4
	s_delay_alu instid0(VALU_DEP_1)
	v_dual_cndmask_b32 v5, v4, v6 :: v_dual_mov_b32 v6, v3
.LBB0_6:                                ;   in Loop: Header=BB0_2 Depth=1
	s_or_b32 exec_lo, exec_lo, s2
	s_delay_alu instid0(VALU_DEP_1) | instskip(NEXT) | instid1(VALU_DEP_2)
	v_mul_lo_u32 v4, v6, s24
	v_mul_lo_u32 v10, v5, s25
	s_load_b64 s[2:3], s[14:15], 0x0
	v_mad_u64_u32 v[13:14], null, v5, s24, 0
	s_load_b64 s[24:25], s[12:13], 0x0
	s_add_u32 s22, s22, 1
	s_addc_u32 s23, s23, 0
	s_add_u32 s12, s12, 8
	s_addc_u32 s13, s13, 0
	s_add_u32 s14, s14, 8
	s_delay_alu instid0(VALU_DEP_1) | instskip(SKIP_3) | instid1(VALU_DEP_2)
	v_add3_u32 v4, v14, v10, v4
	v_sub_co_u32 v10, vcc_lo, v7, v13
	s_addc_u32 s15, s15, 0
	s_add_u32 s20, s20, 8
	v_sub_co_ci_u32_e32 v4, vcc_lo, v8, v4, vcc_lo
	s_addc_u32 s21, s21, 0
	s_waitcnt lgkmcnt(0)
	s_delay_alu instid0(VALU_DEP_1)
	v_mul_lo_u32 v15, s2, v4
	v_mul_lo_u32 v16, s3, v10
	v_mad_u64_u32 v[7:8], null, s2, v10, v[11:12]
	v_mul_lo_u32 v4, s24, v4
	v_mul_lo_u32 v17, s25, v10
	v_mad_u64_u32 v[13:14], null, s24, v10, v[1:2]
	v_cmp_ge_u64_e64 s2, s[22:23], s[10:11]
	v_add3_u32 v12, v16, v8, v15
	v_mov_b32_e32 v11, v7
	s_delay_alu instid0(VALU_DEP_4)
	v_add3_u32 v2, v17, v14, v4
	v_mov_b32_e32 v1, v13
	s_and_b32 vcc_lo, exec_lo, s2
	s_cbranch_vccnz .LBB0_8
; %bb.7:                                ;   in Loop: Header=BB0_2 Depth=1
	v_dual_mov_b32 v8, v6 :: v_dual_mov_b32 v7, v5
	s_branch .LBB0_2
.LBB0_8:
	s_load_b64 s[0:1], s[0:1], 0x28
	v_mul_hi_u32 v8, 0x7c1f07d, v0
	s_lshl_b64 s[10:11], s[10:11], 3
                                        ; implicit-def: $sgpr14
                                        ; implicit-def: $sgpr12_sgpr13
                                        ; implicit-def: $vgpr7
	s_delay_alu instid0(SALU_CYCLE_1) | instskip(SKIP_4) | instid1(VALU_DEP_1)
	s_add_u32 s2, s18, s10
	s_addc_u32 s3, s19, s11
	s_waitcnt lgkmcnt(0)
	v_cmp_gt_u64_e32 vcc_lo, s[0:1], v[5:6]
	v_cmp_le_u64_e64 s0, s[0:1], v[5:6]
	s_and_saveexec_b32 s1, s0
	s_delay_alu instid0(SALU_CYCLE_1)
	s_xor_b32 s0, exec_lo, s1
; %bb.9:
	v_mul_u32_u24_e32 v3, 33, v8
	s_mov_b64 s[12:13], 0
	s_mov_b32 s14, 0
                                        ; implicit-def: $vgpr8
                                        ; implicit-def: $vgpr11_vgpr12
	s_delay_alu instid0(VALU_DEP_1)
	v_sub_nc_u32_e32 v7, v0, v3
                                        ; implicit-def: $vgpr0
; %bb.10:
	s_or_saveexec_b32 s1, s0
	v_dual_mov_b32 v3, s12 :: v_dual_mov_b32 v4, s13
	v_mov_b32_e32 v15, s14
                                        ; implicit-def: $vgpr40
                                        ; implicit-def: $vgpr29
                                        ; implicit-def: $vgpr37
                                        ; implicit-def: $vgpr30
                                        ; implicit-def: $vgpr36
                                        ; implicit-def: $vgpr26
                                        ; implicit-def: $vgpr35
                                        ; implicit-def: $vgpr27
                                        ; implicit-def: $vgpr32
                                        ; implicit-def: $vgpr25
                                        ; implicit-def: $vgpr23
                                        ; implicit-def: $vgpr42
                                        ; implicit-def: $vgpr24
                                        ; implicit-def: $vgpr41
                                        ; implicit-def: $vgpr28
                                        ; implicit-def: $vgpr39
                                        ; implicit-def: $vgpr31
                                        ; implicit-def: $vgpr38
                                        ; implicit-def: $vgpr33
                                        ; implicit-def: $vgpr34
	s_xor_b32 exec_lo, exec_lo, s1
	s_cbranch_execz .LBB0_12
; %bb.11:
	s_add_u32 s10, s16, s10
	s_addc_u32 s11, s17, s11
	s_load_b64 s[10:11], s[10:11], 0x0
	s_waitcnt lgkmcnt(0)
	v_mul_lo_u32 v7, s11, v5
	v_mul_lo_u32 v10, s10, v6
	v_mad_u64_u32 v[3:4], null, s10, v5, 0
	s_delay_alu instid0(VALU_DEP_1) | instskip(SKIP_2) | instid1(VALU_DEP_3)
	v_add3_u32 v4, v4, v10, v7
	v_mul_u32_u24_e32 v7, 33, v8
	v_lshlrev_b64 v[10:11], 2, v[11:12]
	v_lshlrev_b64 v[3:4], 2, v[3:4]
	s_delay_alu instid0(VALU_DEP_3) | instskip(NEXT) | instid1(VALU_DEP_2)
	v_sub_nc_u32_e32 v7, v0, v7
	v_add_co_u32 v0, s0, s4, v3
	s_delay_alu instid0(VALU_DEP_1) | instskip(NEXT) | instid1(VALU_DEP_3)
	v_add_co_ci_u32_e64 v3, s0, s5, v4, s0
	v_lshlrev_b32_e32 v4, 2, v7
	s_delay_alu instid0(VALU_DEP_3) | instskip(NEXT) | instid1(VALU_DEP_1)
	v_add_co_u32 v0, s0, v0, v10
	v_add_co_ci_u32_e64 v8, s0, v3, v11, s0
	s_delay_alu instid0(VALU_DEP_2) | instskip(NEXT) | instid1(VALU_DEP_1)
	v_add_co_u32 v3, s0, v0, v4
	v_add_co_ci_u32_e64 v4, s0, 0, v8, s0
	v_mov_b32_e32 v8, 0
	s_clause 0xa
	global_load_b32 v29, v[3:4], off offset:132
	global_load_b32 v30, v[3:4], off offset:264
	;; [unrolled: 1-line block ×10, first 2 shown]
	global_load_b32 v15, v[3:4], off
	v_dual_mov_b32 v3, v7 :: v_dual_mov_b32 v4, v8
	s_waitcnt vmcnt(10)
	v_lshrrev_b32_e32 v40, 16, v29
	s_waitcnt vmcnt(9)
	v_lshrrev_b32_e32 v37, 16, v30
	;; [unrolled: 2-line block ×10, first 2 shown]
.LBB0_12:
	s_or_b32 exec_lo, exec_lo, s1
	s_delay_alu instid0(VALU_DEP_1)
	v_sub_f16_e32 v11, v40, v23
	s_waitcnt vmcnt(0)
	v_add_f16_e32 v0, v29, v15
	v_add_f16_e32 v10, v29, v42
	v_sub_f16_e32 v13, v37, v24
	v_mul_hi_u32 v8, 0xaaaaaaab, v9
	v_mul_f16_e32 v22, 0xb482, v11
	v_add_f16_e32 v12, v30, v41
	v_add_f16_e32 v0, v30, v0
	v_sub_f16_e32 v16, v36, v28
	v_mul_f16_e32 v45, 0x3853, v13
	v_fma_f16 v43, v10, 0xbbad, -v22
	v_pk_mul_f16 v58, 0xba0cbbeb, v11 op_sel_hi:[1,0]
	v_add_f16_e32 v14, v26, v39
	v_add_f16_e32 v0, v26, v0
	v_sub_f16_e32 v18, v35, v31
	v_mul_f16_e32 v21, 0xbbad, v10
	v_mul_f16_e32 v47, 0xba0c, v16
	v_pk_mul_f16 v50, 0x36a63abb, v10 op_sel_hi:[1,0]
	v_lshrrev_b32_e32 v8, 1, v8
	v_fma_f16 v51, v12, 0x3abb, -v45
	v_add_f16_e32 v43, v43, v15
	v_pk_mul_f16 v57, 0xb93db08e, v10 op_sel_hi:[1,0]
	v_pk_mul_f16 v63, 0x3beb3482, v13 op_sel_hi:[1,0]
	v_pk_fma_f16 v10, 0xb93db08e, v10, v58 op_sel_hi:[1,0,1] neg_lo:[0,0,1] neg_hi:[0,0,1]
	v_add_f16_e32 v17, v27, v38
	v_sub_f16_e32 v20, v32, v33
	v_add_f16_e32 v0, v27, v0
	v_mul_f16_e32 v44, 0x3abb, v12
	v_mul_f16_e32 v48, 0x3b47, v18
	v_pk_mul_f16 v52, 0xb93d36a6, v12 op_sel_hi:[1,0]
	v_fma_f16 v53, v14, 0xb93d, -v47
	v_lshl_add_u32 v8, v8, 1, v8
	v_add_f16_e32 v43, v51, v43
	v_pk_mul_f16 v62, 0xb08ebbad, v12 op_sel_hi:[1,0]
	v_pk_add_f16 v10, v10, v15 op_sel_hi:[1,0]
	v_pk_fma_f16 v12, 0xb08ebbad, v12, v63 op_sel_hi:[1,0,1] neg_lo:[0,0,1] neg_hi:[0,0,1]
	v_add_f16_e32 v19, v25, v34
	v_add_f16_e32 v0, v25, v0
	v_mul_f16_e32 v49, 0xbbeb, v20
	v_fma_f16 v51, v17, 0x36a6, -v48
	v_pk_fma_f16 v54, 0xbb47b853, v11, v50 op_sel_hi:[1,0,1] neg_lo:[0,1,0] neg_hi:[0,1,0]
	v_sub_nc_u32_e32 v8, v9, v8
	v_add_f16_e32 v43, v53, v43
	v_pk_add_f16 v10, v12, v10
	v_bfi_b32 v12, 0xffff, v22, v58
	v_bfi_b32 v21, 0xffff, v21, v57
	v_pk_fma_f16 v11, 0xbb47b853, v11, v50 op_sel_hi:[1,0,1]
	v_mul_f16_e32 v46, 0xb93d, v14
	v_add_f16_e32 v0, v34, v0
	v_fma_f16 v53, v19, 0xb08e, -v49
	v_pk_add_f16 v54, v54, v15 op_sel_hi:[1,0]
	v_mul_u32_u24_e32 v9, 0x16b, v8
	v_add_f16_e32 v8, v51, v43
	v_pk_fma_f16 v43, 0xba0cbb47, v13, v52 op_sel_hi:[1,0,1] neg_lo:[0,1,0] neg_hi:[0,1,0]
	v_pk_mul_f16 v51, 0xbbadb08e, v14 op_sel_hi:[1,0]
	v_pk_mul_f16 v66, 0x3abb36a6, v14 op_sel_hi:[1,0]
	;; [unrolled: 1-line block ×3, first 2 shown]
	v_pk_add_f16 v12, v12, v21
	v_bfi_b32 v21, 0xffff, v45, v63
	v_bfi_b32 v44, 0xffff, v44, v62
	v_add_f16_e32 v61, v58, v57
	v_pk_add_f16 v11, v11, v15 op_sel_hi:[1,0]
	v_pk_fma_f16 v13, 0xba0cbb47, v13, v52 op_sel_hi:[1,0,1]
	v_add_f16_e32 v0, v38, v0
	v_mul_f16_e32 v55, 0x36a6, v17
	v_add_f16_e32 v8, v53, v8
	v_pk_add_f16 v43, v43, v54
	v_pk_fma_f16 v53, 0x3482bbeb, v16, v51 op_sel_hi:[1,0,1] neg_lo:[0,1,0] neg_hi:[0,1,0]
	v_pk_mul_f16 v54, 0xb08eb93d, v17 op_sel_hi:[1,0]
	v_pk_fma_f16 v14, 0x3abb36a6, v14, v67 op_sel_hi:[1,0,1] neg_lo:[0,0,1] neg_hi:[0,0,1]
	v_pk_mul_f16 v57, 0xbbad3abb, v17 op_sel_hi:[1,0]
	v_pk_mul_f16 v58, 0xb482b853, v18 op_sel_hi:[1,0]
	v_pk_add_f16 v12, v12, v15 op_sel_hi:[1,0]
	v_pk_add_f16 v21, v21, v44
	v_bfi_b32 v44, 0xffff, v47, v67
	v_bfi_b32 v45, 0xffff, v46, v66
	v_add_f16_e32 v61, v61, v15
	v_add_f16_e32 v65, v63, v62
	v_pk_add_f16 v11, v13, v11
	v_pk_fma_f16 v13, 0x3482bbeb, v16, v51 op_sel_hi:[1,0,1]
	v_add_f16_e32 v0, v39, v0
	v_mul_f16_e32 v56, 0xb08e, v19
	v_pk_add_f16 v43, v53, v43
	v_pk_fma_f16 v53, 0x3bebba0c, v18, v54 op_sel_hi:[1,0,1] neg_lo:[0,1,0] neg_hi:[0,1,0]
	v_pk_mul_f16 v60, 0x3abbbbad, v19 op_sel_hi:[1,0]
	v_pk_add_f16 v10, v14, v10
	v_pk_fma_f16 v17, 0xbbad3abb, v17, v58 op_sel_hi:[1,0,1] neg_lo:[0,0,1] neg_hi:[0,0,1]
	v_pk_mul_f16 v46, 0x36a6b93d, v19 op_sel_hi:[1,0]
	v_pk_add_f16 v12, v21, v12
	v_pk_add_f16 v21, v44, v45
	v_bfi_b32 v44, 0xffff, v48, v58
	v_bfi_b32 v45, 0xffff, v55, v57
	v_pk_mul_f16 v47, 0x3b47ba0c, v20 op_sel_hi:[1,0]
	v_add_f16_e32 v61, v65, v61
	v_add_f16_e32 v65, v67, v66
	v_pk_add_f16 v11, v13, v11
	v_pk_fma_f16 v13, 0x3bebba0c, v18, v54 op_sel_hi:[1,0,1]
	v_add_f16_e32 v0, v41, v0
	v_pk_add_f16 v53, v53, v43
	v_pk_fma_f16 v64, 0x3853b482, v20, v60 op_sel_hi:[1,0,1] neg_lo:[0,1,0] neg_hi:[0,1,0]
	v_pk_add_f16 v12, v21, v12
	v_pk_add_f16 v16, v44, v45
	v_bfi_b32 v21, 0xffff, v49, v47
	v_bfi_b32 v44, 0xffff, v56, v46
	v_pk_add_f16 v10, v17, v10
	v_pk_fma_f16 v17, 0x36a6b93d, v19, v47 op_sel_hi:[1,0,1] neg_lo:[0,0,1] neg_hi:[0,0,1]
	v_add_f16_e32 v22, v65, v61
	v_add_f16_e32 v14, v58, v57
	v_pk_add_f16 v11, v13, v11
	v_pk_fma_f16 v18, 0x3853b482, v20, v60 op_sel_hi:[1,0,1]
	v_add_f16_e32 v0, v42, v0
	v_lshl_add_u32 v59, v9, 1, 0
	v_pk_add_f16 v53, v64, v53
	v_pk_add_f16 v12, v16, v12
	;; [unrolled: 1-line block ×4, first 2 shown]
	v_add_f16_e32 v17, v14, v22
	v_add_f16_e32 v19, v47, v46
	v_pk_add_f16 v14, v18, v11
	v_mad_u32_u24 v43, v7, 22, v59
	v_pk_add_f16 v13, v16, v12
	v_alignbit_b32 v12, v8, v10, 16
	v_alignbit_b32 v11, v10, v53, 16
	v_pack_b32_f16 v10, v0, v53
	v_add_f16_e32 v0, v19, v17
	v_alignbit_b32 v8, v14, v14, 16
	s_load_b64 s[2:3], s[2:3], 0x0
	ds_store_b128 v43, v[10:13]
	ds_store_b16 v43, v0 offset:16
	ds_store_b32 v43, v8 offset:18
	v_lshl_add_u32 v0, v7, 1, v59
	v_mad_i32_i24 v8, 0xffffffec, v7, v43
	s_waitcnt lgkmcnt(0)
	s_barrier
	buffer_gl0_inv
	ds_load_u16 v11, v0
	ds_load_u16 v12, v8 offset:66
	ds_load_u16 v17, v8 offset:308
	;; [unrolled: 1-line block ×8, first 2 shown]
	v_cmp_gt_u32_e64 s0, 22, v7
	v_lshrrev_b32_e32 v10, 16, v14
                                        ; implicit-def: $vgpr20
	s_delay_alu instid0(VALU_DEP_2)
	s_and_saveexec_b32 s1, s0
	s_cbranch_execz .LBB0_14
; %bb.13:
	ds_load_u16 v10, v8 offset:198
	ds_load_u16 v14, v8 offset:440
	;; [unrolled: 1-line block ×3, first 2 shown]
.LBB0_14:
	s_or_b32 exec_lo, exec_lo, s1
	v_lshrrev_b32_e32 v44, 16, v15
	v_add_f16_e32 v45, v40, v23
	v_sub_f16_e32 v29, v29, v42
	v_add_f16_e32 v42, v37, v24
	v_sub_f16_e32 v30, v30, v41
	v_add_f16_e32 v40, v40, v44
	v_add_f16_e32 v41, v36, v28
	v_sub_f16_e32 v26, v26, v39
	v_add_f16_e32 v39, v35, v31
	v_sub_f16_e32 v27, v27, v38
	v_add_f16_e32 v37, v37, v40
	v_add_f16_e32 v38, v32, v33
	v_pk_mul_f16 v50, 0xbb47b853, v29 op_sel_hi:[1,0]
	v_pk_mul_f16 v51, 0xba0cbb47, v30 op_sel_hi:[1,0]
	v_mul_f16_e32 v40, 0xb482, v29
	v_add_f16_e32 v36, v36, v37
	v_pk_mul_f16 v52, 0x3bebba0c, v27 op_sel_hi:[1,0]
	v_pk_fma_f16 v56, 0x36a63abb, v45, v50 op_sel_hi:[1,0,1]
	v_pk_mul_f16 v29, 0xba0cbbeb, v29 op_sel_hi:[1,0]
	v_fmamk_f16 v53, v45, 0xbbad, v40
	v_add_f16_e32 v35, v35, v36
	v_sub_f16_e32 v25, v25, v34
	v_mul_f16_e32 v34, 0xbbad, v45
	v_mul_f16_e32 v46, 0x3853, v30
	v_add_f16_e32 v53, v53, v44
	v_add_f16_e32 v32, v32, v35
	v_pk_mul_f16 v35, 0x3482bbeb, v26 op_sel_hi:[1,0]
	v_pk_mul_f16 v30, 0x3beb3482, v30 op_sel_hi:[1,0]
	v_mul_f16_e32 v37, 0x3abb, v42
	v_mul_f16_e32 v48, 0xba0c, v26
	v_add_f16_e32 v32, v33, v32
	v_pk_fma_f16 v57, 0xbbadb08e, v41, v35 op_sel_hi:[1,0,1]
	v_fmamk_f16 v54, v42, 0x3abb, v46
	v_pk_add_f16 v56, v56, v15 op_sel:[0,1]
	v_pk_mul_f16 v26, 0xb8533b47, v26 op_sel_hi:[1,0]
	v_add_f16_e32 v31, v31, v32
	v_pk_fma_f16 v32, 0xb93d36a6, v42, v51 op_sel_hi:[1,0,1]
	v_mul_f16_e32 v47, 0xb93d, v41
	v_mul_f16_e32 v49, 0x3b47, v27
	v_fmamk_f16 v33, v41, 0xb93d, v48
	v_add_f16_e32 v28, v28, v31
	v_pk_fma_f16 v31, 0x36a63abb, v45, v50 op_sel_hi:[1,0,1] neg_lo:[0,0,1] neg_hi:[0,0,1]
	v_pk_fma_f16 v50, 0xb93d36a6, v42, v51 op_sel_hi:[1,0,1] neg_lo:[0,0,1] neg_hi:[0,0,1]
	v_pk_mul_f16 v51, 0xb08ebbad, v42 op_sel_hi:[1,0]
	v_pk_fma_f16 v42, 0xb08ebbad, v42, v30 op_sel_hi:[1,0,1]
	v_add_f16_e32 v24, v24, v28
	v_pk_add_f16 v28, v31, v15 op_sel:[0,1]
	v_add_f16_e32 v53, v54, v53
	v_pk_add_f16 v32, v32, v56
	v_pk_mul_f16 v27, 0xb482b853, v27 op_sel_hi:[1,0]
	v_add_f16_e32 v23, v23, v24
	v_pk_add_f16 v24, v50, v28
	v_pk_fma_f16 v28, 0xbbadb08e, v41, v35 op_sel_hi:[1,0,1] neg_lo:[0,0,1] neg_hi:[0,0,1]
	v_pk_mul_f16 v35, 0xb93db08e, v45 op_sel_hi:[1,0]
	v_mul_f16_e32 v36, 0x36a6, v39
	v_add_f16_e32 v33, v33, v53
	v_pk_fma_f16 v31, 0xb08eb93d, v39, v52 op_sel_hi:[1,0,1]
	v_pk_add_f16 v24, v28, v24
	v_pk_fma_f16 v28, 0xb08eb93d, v39, v52 op_sel_hi:[1,0,1] neg_lo:[0,0,1] neg_hi:[0,0,1]
	v_sub_f16_e32 v50, v35, v29
	v_bfi_b32 v34, 0xffff, v34, v35
	v_pk_add_f16 v32, v57, v32
	v_pk_mul_f16 v53, 0xbbad3abb, v39 op_sel_hi:[1,0]
	v_pk_add_f16 v24, v28, v24
	v_add_f16_e32 v28, v50, v44
	v_pk_fma_f16 v44, 0xb93db08e, v45, v29 op_sel_hi:[1,0,1]
	v_bfi_b32 v29, 0xffff, v40, v29
	v_sub_f16_e32 v45, v51, v30
	v_pk_mul_f16 v50, 0x3abb36a6, v41 op_sel_hi:[1,0]
	v_pk_fma_f16 v40, 0x3abb36a6, v41, v26 op_sel_hi:[1,0,1]
	v_pk_add_f16 v44, v44, v15 op_sel:[0,1]
	v_pk_add_f16 v29, v34, v29 neg_lo:[0,1] neg_hi:[0,1]
	v_bfi_b32 v34, 0xffff, v37, v51
	v_bfi_b32 v30, 0xffff, v46, v30
	v_add_f16_e32 v28, v45, v28
	v_pk_add_f16 v35, v42, v44
	v_sub_f16_e32 v45, v50, v26
	v_pk_fma_f16 v37, 0xbbad3abb, v39, v27 op_sel_hi:[1,0,1]
	v_pk_add_f16 v15, v29, v15 op_sel:[0,1]
	v_pk_add_f16 v29, v34, v30 neg_lo:[0,1] neg_hi:[0,1]
	v_pk_add_f16 v35, v40, v35
	v_bfi_b32 v30, 0xffff, v47, v50
	v_bfi_b32 v26, 0xffff, v48, v26
	v_fmamk_f16 v55, v39, 0x36a6, v49
	v_pk_add_f16 v31, v31, v32
	v_pk_mul_f16 v32, 0x3853b482, v25 op_sel_hi:[1,0]
	v_sub_f16_e32 v41, v53, v27
	v_pk_add_f16 v34, v37, v35
	v_pk_mul_f16 v35, 0x36a6b93d, v38 op_sel_hi:[1,0]
	v_pk_mul_f16 v37, 0x3b47ba0c, v25 op_sel_hi:[1,0]
	v_pk_add_f16 v15, v29, v15
	v_pk_add_f16 v26, v30, v26 neg_lo:[0,1] neg_hi:[0,1]
	v_bfi_b32 v29, 0xffff, v36, v53
	v_bfi_b32 v27, 0xffff, v49, v27
	v_mul_f16_e32 v30, 0xb08e, v38
	v_mul_f16_e32 v25, 0xbbeb, v25
	v_add_f16_e32 v33, v55, v33
	v_pk_fma_f16 v52, 0x3abbbbad, v38, v32 op_sel_hi:[1,0,1]
	v_pk_fma_f16 v36, 0x36a6b93d, v38, v37 op_sel_hi:[1,0,1]
	v_pk_add_f16 v15, v26, v15
	v_pk_add_f16 v26, v29, v27 neg_lo:[0,1] neg_hi:[0,1]
	v_bfi_b32 v27, 0xffff, v30, v35
	v_bfi_b32 v29, 0xffff, v25, v37
	v_fmamk_f16 v25, v38, 0xb08e, v25
	v_add_f16_e32 v28, v45, v28
	v_pk_fma_f16 v32, 0x3abbbbad, v38, v32 op_sel_hi:[1,0,1] neg_lo:[0,0,1] neg_hi:[0,0,1]
	v_pk_add_f16 v34, v36, v34
	v_pk_add_f16 v26, v26, v15
	v_pk_add_f16 v27, v27, v29 neg_lo:[0,1] neg_hi:[0,1]
	v_add_f16_e32 v25, v25, v33
	v_pk_add_f16 v29, v52, v31
	v_add_f16_e32 v28, v41, v28
	v_sub_f16_e32 v30, v35, v37
	v_pk_add_f16 v15, v32, v24
	v_pk_add_f16 v26, v27, v26
	v_alignbit_b32 v25, v25, v34, 16
	v_alignbit_b32 v24, v34, v29, 16
	v_pack_b32_f16 v23, v23, v29
	v_add_f16_e32 v28, v30, v28
	v_alignbit_b32 v27, v15, v15, 16
	s_waitcnt lgkmcnt(0)
	s_barrier
	buffer_gl0_inv
	ds_store_b128 v43, v[23:26]
	ds_store_b16 v43, v28 offset:16
	ds_store_b32 v43, v27 offset:18
	s_waitcnt lgkmcnt(0)
	s_barrier
	buffer_gl0_inv
	ds_load_u16 v24, v0
	ds_load_u16 v25, v8 offset:66
	ds_load_u16 v28, v8 offset:308
	;; [unrolled: 1-line block ×8, first 2 shown]
	v_lshrrev_b32_e32 v23, 16, v15
                                        ; implicit-def: $vgpr30
	s_and_saveexec_b32 s1, s0
	s_cbranch_execz .LBB0_16
; %bb.15:
	ds_load_u16 v23, v8 offset:198
	ds_load_u16 v15, v8 offset:440
	;; [unrolled: 1-line block ×3, first 2 shown]
.LBB0_16:
	s_or_b32 exec_lo, exec_lo, s1
	v_and_b32_e32 v34, 0xff, v7
	v_add_nc_u16 v35, v7, 33
	v_add_nc_u16 v36, v7, 0x42
	;; [unrolled: 1-line block ×3, first 2 shown]
	s_delay_alu instid0(VALU_DEP_4) | instskip(NEXT) | instid1(VALU_DEP_4)
	v_mul_lo_u16 v34, 0x75, v34
	v_and_b32_e32 v38, 0xff, v35
	s_delay_alu instid0(VALU_DEP_4) | instskip(NEXT) | instid1(VALU_DEP_4)
	v_and_b32_e32 v39, 0xff, v36
	v_and_b32_e32 v40, 0xff, v37
	s_delay_alu instid0(VALU_DEP_4) | instskip(NEXT) | instid1(VALU_DEP_4)
	v_lshrrev_b16 v34, 8, v34
	v_mul_lo_u16 v38, 0x75, v38
	s_delay_alu instid0(VALU_DEP_4) | instskip(NEXT) | instid1(VALU_DEP_4)
	v_mul_lo_u16 v39, 0x75, v39
	v_mul_lo_u16 v40, 0x75, v40
	s_delay_alu instid0(VALU_DEP_4) | instskip(NEXT) | instid1(VALU_DEP_4)
	v_sub_nc_u16 v41, v7, v34
	v_lshrrev_b16 v38, 8, v38
	s_delay_alu instid0(VALU_DEP_4) | instskip(NEXT) | instid1(VALU_DEP_4)
	v_lshrrev_b16 v39, 8, v39
	v_lshrrev_b16 v40, 8, v40
	s_delay_alu instid0(VALU_DEP_4) | instskip(NEXT) | instid1(VALU_DEP_4)
	v_lshrrev_b16 v41, 1, v41
	v_sub_nc_u16 v42, v35, v38
	s_delay_alu instid0(VALU_DEP_4) | instskip(NEXT) | instid1(VALU_DEP_4)
	v_sub_nc_u16 v43, v36, v39
	v_sub_nc_u16 v44, v37, v40
	s_delay_alu instid0(VALU_DEP_4) | instskip(NEXT) | instid1(VALU_DEP_4)
	v_and_b32_e32 v41, 0x7f, v41
	v_lshrrev_b16 v42, 1, v42
	s_delay_alu instid0(VALU_DEP_2) | instskip(SKIP_2) | instid1(VALU_DEP_4)
	v_add_nc_u16 v34, v41, v34
	v_lshrrev_b16 v41, 1, v43
	v_lshrrev_b16 v43, 1, v44
	v_and_b32_e32 v42, 0x7f, v42
	s_delay_alu instid0(VALU_DEP_4) | instskip(NEXT) | instid1(VALU_DEP_4)
	v_lshrrev_b16 v34, 3, v34
	v_and_b32_e32 v41, 0x7f, v41
	s_delay_alu instid0(VALU_DEP_4) | instskip(NEXT) | instid1(VALU_DEP_4)
	v_and_b32_e32 v43, 0x7f, v43
	v_add_nc_u16 v38, v42, v38
	s_delay_alu instid0(VALU_DEP_4) | instskip(NEXT) | instid1(VALU_DEP_4)
	v_mul_lo_u16 v42, v34, 11
	v_add_nc_u16 v39, v41, v39
	s_delay_alu instid0(VALU_DEP_4) | instskip(NEXT) | instid1(VALU_DEP_4)
	v_add_nc_u16 v40, v43, v40
	v_lshrrev_b16 v38, 3, v38
	s_delay_alu instid0(VALU_DEP_4) | instskip(NEXT) | instid1(VALU_DEP_4)
	v_sub_nc_u16 v41, v7, v42
	v_lshrrev_b16 v39, 3, v39
	s_delay_alu instid0(VALU_DEP_4) | instskip(NEXT) | instid1(VALU_DEP_4)
	v_lshrrev_b16 v40, 3, v40
	v_mul_lo_u16 v42, v38, 11
	s_delay_alu instid0(VALU_DEP_4) | instskip(NEXT) | instid1(VALU_DEP_4)
	v_and_b32_e32 v41, 0xff, v41
	v_mul_lo_u16 v43, v39, 11
	s_delay_alu instid0(VALU_DEP_4) | instskip(NEXT) | instid1(VALU_DEP_4)
	v_mul_lo_u16 v44, v40, 11
	v_sub_nc_u16 v35, v35, v42
	s_delay_alu instid0(VALU_DEP_4) | instskip(NEXT) | instid1(VALU_DEP_4)
	v_lshlrev_b32_e32 v42, 3, v41
	v_sub_nc_u16 v36, v36, v43
	s_delay_alu instid0(VALU_DEP_4) | instskip(NEXT) | instid1(VALU_DEP_4)
	v_sub_nc_u16 v37, v37, v44
	v_and_b32_e32 v43, 0xff, v35
	global_load_b64 v[45:46], v42, s[8:9]
	v_and_b32_e32 v36, 0xff, v36
	v_and_b32_e32 v42, 0xff, v37
	v_lshlrev_b32_e32 v35, 3, v43
	s_delay_alu instid0(VALU_DEP_3) | instskip(NEXT) | instid1(VALU_DEP_3)
	v_lshlrev_b32_e32 v37, 3, v36
	v_lshlrev_b32_e32 v44, 3, v42
	s_clause 0x2
	global_load_b64 v[47:48], v35, s[8:9]
	global_load_b64 v[49:50], v37, s[8:9]
	;; [unrolled: 1-line block ×3, first 2 shown]
	v_and_b32_e32 v35, 0xffff, v34
	v_lshlrev_b32_e32 v34, 1, v9
	v_and_b32_e32 v9, 0xffff, v38
	v_and_b32_e32 v37, 0xffff, v39
	v_lshlrev_b32_e32 v39, 1, v41
	v_mad_u32_u24 v38, 0x42, v35, 0
	v_and_b32_e32 v35, 0xffff, v40
	v_mad_u32_u24 v9, 0x42, v9, 0
	v_mad_u32_u24 v40, 0x42, v37, 0
	v_lshlrev_b32_e32 v41, 1, v43
	v_lshlrev_b32_e32 v43, 1, v36
	;; [unrolled: 1-line block ×3, first 2 shown]
	v_add3_u32 v37, v38, v39, v34
	s_waitcnt vmcnt(0) lgkmcnt(0)
	v_add3_u32 v39, v9, v41, v34
	v_add3_u32 v38, v40, v43, v34
	s_barrier
	buffer_gl0_inv
	v_lshrrev_b32_e32 v42, 16, v45
	v_lshrrev_b32_e32 v44, 16, v46
	s_delay_alu instid0(VALU_DEP_2) | instskip(SKIP_1) | instid1(VALU_DEP_3)
	v_mul_f16_e32 v9, v33, v42
	v_mul_f16_e32 v42, v22, v42
	;; [unrolled: 1-line block ×4, first 2 shown]
	v_lshrrev_b32_e32 v43, 16, v47
	v_lshrrev_b32_e32 v53, 16, v48
	;; [unrolled: 1-line block ×5, first 2 shown]
	v_fma_f16 v44, v22, v45, -v9
	v_fmac_f16_e32 v42, v33, v45
	v_fma_f16 v45, v21, v46, -v40
	v_fmac_f16_e32 v41, v32, v46
	v_mul_f16_e32 v21, v28, v43
	v_mul_f16_e32 v46, v27, v53
	;; [unrolled: 1-line block ×8, first 2 shown]
	v_lshrrev_b32_e32 v57, 16, v52
	v_fma_f16 v17, v17, v47, -v21
	v_fma_f16 v21, v16, v48, -v46
	v_mul_f16_e32 v40, v19, v55
	v_mul_f16_e32 v55, v15, v56
	v_fmac_f16_e32 v43, v28, v47
	v_fma_f16 v28, v18, v49, -v53
	v_fmac_f16_e32 v9, v29, v49
	v_fma_f16 v29, v19, v50, -v54
	v_fmac_f16_e32 v32, v15, v51
	v_add_f16_e32 v15, v44, v45
	v_mul_f16_e32 v56, v30, v57
	v_fmac_f16_e32 v33, v27, v48
	v_add_f16_e32 v19, v17, v21
	v_mul_f16_e32 v22, v20, v57
	v_fmac_f16_e32 v40, v31, v50
	v_fma_f16 v16, v14, v51, -v55
	v_add_f16_e32 v14, v11, v44
	v_add_f16_e32 v31, v28, v29
	v_sub_f16_e32 v18, v42, v41
	v_fmac_f16_e32 v11, -0.5, v15
	v_add_f16_e32 v15, v12, v17
	v_fma_f16 v27, v20, v52, -v56
	v_sub_f16_e32 v20, v43, v33
	v_fmac_f16_e32 v12, -0.5, v19
	v_fmac_f16_e32 v22, v30, v52
	v_add_f16_e32 v14, v14, v45
	v_add_f16_e32 v30, v13, v28
	v_sub_f16_e32 v46, v9, v40
	v_fmac_f16_e32 v13, -0.5, v31
	v_fmamk_f16 v47, v18, 0x3aee, v11
	v_fmac_f16_e32 v11, 0xbaee, v18
	v_add_f16_e32 v15, v15, v21
	v_fmamk_f16 v19, v20, 0x3aee, v12
	v_add_f16_e32 v18, v30, v29
	v_fmac_f16_e32 v12, 0xbaee, v20
	v_fmamk_f16 v20, v46, 0x3aee, v13
	v_fmac_f16_e32 v13, 0xbaee, v46
	ds_store_b16 v37, v14
	ds_store_b16 v37, v47 offset:22
	ds_store_b16 v37, v11 offset:44
	ds_store_b16 v39, v15
	ds_store_b16 v39, v19 offset:22
	ds_store_b16 v39, v12 offset:44
	;; [unrolled: 3-line block ×3, first 2 shown]
	s_and_saveexec_b32 s1, s0
	s_cbranch_execz .LBB0_18
; %bb.17:
	v_add_f16_e32 v11, v16, v27
	v_add_f16_e32 v13, v10, v16
	v_mad_u32_u24 v14, 0x42, v35, 0
	v_sub_f16_e32 v12, v32, v22
	s_delay_alu instid0(VALU_DEP_4) | instskip(NEXT) | instid1(VALU_DEP_4)
	v_fma_f16 v10, -0.5, v11, v10
	v_add_f16_e32 v11, v13, v27
	s_delay_alu instid0(VALU_DEP_4) | instskip(NEXT) | instid1(VALU_DEP_3)
	v_add3_u32 v13, v14, v36, v34
	v_fmamk_f16 v14, v12, 0xbaee, v10
	v_fmac_f16_e32 v10, 0x3aee, v12
	ds_store_b16 v13, v11
	ds_store_b16 v13, v10 offset:22
	ds_store_b16 v13, v14 offset:44
.LBB0_18:
	s_or_b32 exec_lo, exec_lo, s1
	v_add_f16_e32 v11, v24, v42
	v_add_f16_e32 v10, v42, v41
	v_sub_f16_e32 v12, v44, v45
	v_add_f16_e32 v13, v43, v33
	v_add_f16_e32 v30, v25, v43
	;; [unrolled: 1-line block ×3, first 2 shown]
	v_lshlrev_b32_e32 v11, 1, v7
	v_fmac_f16_e32 v24, -0.5, v10
	v_add_f16_e32 v10, v9, v40
	v_fmac_f16_e32 v25, -0.5, v13
	v_sub_f16_e32 v42, v17, v21
	v_add3_u32 v19, 0, v11, v34
	v_fmamk_f16 v41, v12, 0xbaee, v24
	v_fmac_f16_e32 v24, 0x3aee, v12
	v_add_f16_e32 v43, v26, v9
	v_fmac_f16_e32 v26, -0.5, v10
	s_waitcnt lgkmcnt(0)
	s_barrier
	buffer_gl0_inv
	ds_load_u16 v9, v0
	ds_load_u16 v18, v8 offset:66
	ds_load_u16 v15, v8 offset:132
	;; [unrolled: 1-line block ×10, first 2 shown]
	v_sub_f16_e32 v28, v28, v29
	v_add_f16_e32 v29, v30, v33
	v_fmamk_f16 v30, v42, 0xbaee, v25
	v_fmac_f16_e32 v25, 0x3aee, v42
	v_add_f16_e32 v33, v43, v40
	v_fmamk_f16 v40, v28, 0xbaee, v26
	v_fmac_f16_e32 v26, 0x3aee, v28
	s_waitcnt lgkmcnt(0)
	s_barrier
	buffer_gl0_inv
	ds_store_b16 v37, v31
	ds_store_b16 v37, v41 offset:22
	ds_store_b16 v37, v24 offset:44
	ds_store_b16 v39, v29
	ds_store_b16 v39, v30 offset:22
	ds_store_b16 v39, v25 offset:44
	;; [unrolled: 3-line block ×3, first 2 shown]
	s_and_saveexec_b32 s1, s0
	s_cbranch_execz .LBB0_20
; %bb.19:
	v_add_f16_e32 v24, v32, v22
	v_add_f16_e32 v25, v23, v32
	v_mad_u32_u24 v26, 0x42, v35, 0
	v_sub_f16_e32 v16, v16, v27
	s_delay_alu instid0(VALU_DEP_4) | instskip(NEXT) | instid1(VALU_DEP_4)
	v_fmac_f16_e32 v23, -0.5, v24
	v_add_f16_e32 v22, v25, v22
	s_delay_alu instid0(VALU_DEP_4) | instskip(NEXT) | instid1(VALU_DEP_3)
	v_add3_u32 v24, v26, v36, v34
	v_fmamk_f16 v25, v16, 0xbaee, v23
	v_fmac_f16_e32 v23, 0x3aee, v16
	ds_store_b16 v24, v22
	ds_store_b16 v24, v25 offset:22
	ds_store_b16 v24, v23 offset:44
.LBB0_20:
	s_or_b32 exec_lo, exec_lo, s1
	s_waitcnt lgkmcnt(0)
	s_barrier
	buffer_gl0_inv
	s_and_saveexec_b32 s0, vcc_lo
	s_cbranch_execz .LBB0_22
; %bb.21:
	v_mul_u32_u24_e32 v7, 10, v7
	v_mul_lo_u32 v16, s3, v5
	v_mul_lo_u32 v32, s2, v6
	s_delay_alu instid0(VALU_DEP_3)
	v_lshlrev_b32_e32 v7, 2, v7
	s_clause 0x2
	global_load_b128 v[22:25], v7, s[8:9] offset:88
	global_load_b64 v[30:31], v7, s[8:9] offset:120
	global_load_b128 v[26:29], v7, s[8:9] offset:104
	v_mad_u64_u32 v[6:7], null, s2, v5, 0
	ds_load_u16 v33, v19 offset:660
	v_add3_u32 v7, v7, v32, v16
	ds_load_u16 v32, v19 offset:198
	ds_load_u16 v34, v19 offset:264
	;; [unrolled: 1-line block ×5, first 2 shown]
	v_lshlrev_b64 v[5:6], 2, v[6:7]
	ds_load_u16 v7, v8 offset:132
	ds_load_u16 v38, v8 offset:66
	ds_load_u16 v16, v0
	v_lshlrev_b64 v[0:1], 2, v[1:2]
	ds_load_u16 v39, v19 offset:594
	ds_load_u16 v40, v19 offset:528
	v_lshlrev_b64 v[2:3], 2, v[3:4]
	v_add_co_u32 v5, vcc_lo, s6, v5
	v_add_co_ci_u32_e32 v6, vcc_lo, s7, v6, vcc_lo
	s_delay_alu instid0(VALU_DEP_2) | instskip(NEXT) | instid1(VALU_DEP_2)
	v_add_co_u32 v0, vcc_lo, v5, v0
	v_add_co_ci_u32_e32 v1, vcc_lo, v6, v1, vcc_lo
	s_delay_alu instid0(VALU_DEP_2) | instskip(NEXT) | instid1(VALU_DEP_2)
	v_add_co_u32 v0, vcc_lo, v0, v2
	v_add_co_ci_u32_e32 v1, vcc_lo, v1, v3, vcc_lo
	s_waitcnt vmcnt(2)
	v_lshrrev_b32_e32 v3, 16, v22
	s_waitcnt vmcnt(1)
	v_lshrrev_b32_e32 v2, 16, v31
	v_lshrrev_b32_e32 v5, 16, v23
	;; [unrolled: 1-line block ×4, first 2 shown]
	s_waitcnt vmcnt(0)
	v_lshrrev_b32_e32 v8, 16, v28
	v_lshrrev_b32_e32 v43, 16, v29
	s_waitcnt lgkmcnt(3)
	v_mul_f16_e32 v44, v38, v3
	v_mul_f16_e32 v45, v33, v2
	;; [unrolled: 1-line block ×3, first 2 shown]
	v_lshrrev_b32_e32 v6, 16, v24
	v_lshrrev_b32_e32 v41, 16, v26
	;; [unrolled: 1-line block ×3, first 2 shown]
	v_mul_f16_e32 v2, v21, v2
	v_mul_f16_e32 v47, v7, v5
	s_waitcnt lgkmcnt(1)
	v_mul_f16_e32 v48, v39, v4
	v_mul_f16_e32 v49, v15, v5
	s_waitcnt lgkmcnt(0)
	v_mul_f16_e32 v51, v40, v43
	v_mul_f16_e32 v5, v17, v43
	;; [unrolled: 1-line block ×4, first 2 shown]
	v_fma_f16 v18, v18, v22, -v44
	v_fma_f16 v3, v21, v31, -v45
	v_fmac_f16_e32 v46, v22, v38
	v_mul_f16_e32 v50, v32, v6
	v_mul_f16_e32 v55, v35, v41
	;; [unrolled: 1-line block ×9, first 2 shown]
	v_fmac_f16_e32 v2, v31, v33
	v_fma_f16 v15, v15, v23, -v47
	v_fma_f16 v6, v20, v30, -v48
	v_fmac_f16_e32 v49, v23, v7
	v_fma_f16 v7, v17, v29, -v51
	v_fmac_f16_e32 v5, v29, v40
	v_fma_f16 v17, v12, v25, -v52
	v_fma_f16 v12, v13, v28, -v53
	v_sub_f16_e32 v13, v18, v3
	v_add_f16_e32 v29, v18, v3
	v_add_f16_e32 v18, v9, v18
	v_add_f16_e32 v33, v46, v16
	v_fma_f16 v14, v14, v24, -v50
	v_fma_f16 v10, v10, v26, -v55
	;; [unrolled: 1-line block ×3, first 2 shown]
	v_fmac_f16_e32 v4, v30, v39
	v_fmac_f16_e32 v43, v24, v32
	;; [unrolled: 1-line block ×6, first 2 shown]
	v_sub_f16_e32 v21, v15, v6
	v_sub_f16_e32 v30, v46, v2
	v_add_f16_e32 v31, v15, v6
	v_add_f16_e32 v15, v18, v15
	v_add_f16_e32 v18, v33, v49
	v_sub_f16_e32 v23, v14, v7
	v_sub_f16_e32 v25, v17, v12
	;; [unrolled: 1-line block ×3, first 2 shown]
	v_add_f16_e32 v20, v46, v2
	v_sub_f16_e32 v32, v49, v4
	v_sub_f16_e32 v34, v43, v5
	v_add_f16_e32 v35, v14, v7
	v_sub_f16_e32 v36, v54, v8
	v_sub_f16_e32 v38, v41, v19
	v_mul_f16_e32 v40, 0xb482, v13
	v_mul_f16_e32 v47, 0xb482, v30
	v_mul_f16_e32 v50, 0xba0c, v13
	v_mul_f16_e32 v56, 0xba0c, v30
	v_mul_f16_e32 v58, 0xbbeb, v13
	v_mul_f16_e32 v63, 0xbbeb, v30
	v_mul_f16_e32 v65, 0xbb47, v13
	v_mul_f16_e32 v70, 0xbb47, v30
	v_mul_f16_e32 v13, 0xb853, v13
	v_add_f16_e32 v18, v18, v43
	v_add_f16_e32 v14, v15, v14
	;; [unrolled: 1-line block ×6, first 2 shown]
	v_mul_f16_e32 v42, 0x3853, v21
	v_mul_f16_e32 v44, 0xba0c, v23
	;; [unrolled: 1-line block ×21, first 2 shown]
	v_add_f16_e32 v37, v17, v12
	v_add_f16_e32 v39, v10, v11
	v_mul_f16_e32 v48, 0x3853, v32
	v_mul_f16_e32 v57, 0x3beb, v32
	;; [unrolled: 1-line block ×20, first 2 shown]
	v_fmamk_f16 v82, v20, 0xbbad, v40
	v_fma_f16 v87, v29, 0xbbad, -v47
	v_fmamk_f16 v89, v20, 0xb93d, v50
	v_fma_f16 v94, v29, 0xb93d, -v56
	v_fmamk_f16 v96, v20, 0xb08e, v58
	v_fma_f16 v101, v29, 0xb08e, -v63
	v_fmamk_f16 v103, v20, 0x36a6, v65
	v_fma_f16 v108, v29, 0x36a6, -v70
	v_fmamk_f16 v109, v20, 0x3abb, v13
	v_fma_f16 v40, v20, 0xbbad, -v40
	v_fma_f16 v50, v20, 0xb93d, -v50
	v_fma_f16 v58, v20, 0xb08e, -v58
	;; [unrolled: 1-line block ×4, first 2 shown]
	v_add_f16_e32 v14, v14, v17
	v_add_f16_e32 v17, v18, v54
	v_fmamk_f16 v83, v22, 0x3abb, v42
	v_fmamk_f16 v84, v24, 0xb93d, v44
	;; [unrolled: 1-line block ×17, first 2 shown]
	v_fma_f16 v42, v22, 0x3abb, -v42
	v_fma_f16 v51, v22, 0xb08e, -v51
	v_fma_f16 v59, v22, 0xbbad, -v59
	v_fma_f16 v66, v22, 0xb93d, -v66
	v_fma_f16 v21, v22, 0x36a6, -v21
	v_fmamk_f16 v22, v24, 0xb08e, v23
	v_fma_f16 v44, v24, 0xb93d, -v44
	v_fma_f16 v52, v24, 0x3abb, -v52
	v_fma_f16 v60, v24, 0x36a6, -v60
	v_fma_f16 v67, v24, 0xbbad, -v67
	v_fma_f16 v23, v24, 0xb08e, -v23
	v_fmamk_f16 v24, v26, 0xb93d, v25
	;; [unrolled: 6-line block ×3, first 2 shown]
	v_fma_f16 v46, v28, 0xb08e, -v46
	v_fma_f16 v55, v28, 0x36a6, -v55
	;; [unrolled: 1-line block ×6, first 2 shown]
	v_fmac_f16_e32 v47, 0xbbad, v29
	v_fma_f16 v88, v31, 0x3abb, -v48
	v_fma_f16 v95, v31, 0xb08e, -v57
	;; [unrolled: 1-line block ×3, first 2 shown]
	v_fmac_f16_e32 v56, 0xb93d, v29
	v_fmac_f16_e32 v63, 0xb08e, v29
	;; [unrolled: 1-line block ×4, first 2 shown]
	v_fma_f16 v29, v31, 0xb93d, -v71
	v_fmac_f16_e32 v48, 0x3abb, v31
	v_fmac_f16_e32 v57, 0xb08e, v31
	;; [unrolled: 1-line block ×4, first 2 shown]
	v_fma_f16 v110, v31, 0x36a6, -v32
	v_fmac_f16_e32 v32, 0x36a6, v31
	v_fma_f16 v15, v35, 0xb93d, -v33
	v_fmac_f16_e32 v33, 0xb93d, v35
	v_fma_f16 v31, v35, 0x3abb, -v49
	v_fmac_f16_e32 v49, 0x3abb, v35
	v_fma_f16 v43, v35, 0x36a6, -v72
	v_fmac_f16_e32 v72, 0x36a6, v35
	v_fma_f16 v111, v35, 0xbbad, -v73
	v_fmac_f16_e32 v73, 0xbbad, v35
	v_fma_f16 v112, v35, 0xb08e, -v34
	v_fmac_f16_e32 v34, 0xb08e, v35
	v_fma_f16 v35, v37, 0x36a6, -v74
	v_fmac_f16_e32 v74, 0x36a6, v37
	v_fma_f16 v113, v37, 0xbbad, -v75
	v_fmac_f16_e32 v75, 0xbbad, v37
	v_fma_f16 v114, v37, 0x3abb, -v76
	v_fmac_f16_e32 v76, 0x3abb, v37
	v_fma_f16 v115, v37, 0xb08e, -v77
	v_fmac_f16_e32 v77, 0xb08e, v37
	v_fma_f16 v116, v37, 0xb93d, -v36
	v_fmac_f16_e32 v36, 0xb93d, v37
	v_fma_f16 v37, v39, 0xb08e, -v78
	v_fmac_f16_e32 v78, 0xb08e, v39
	v_fma_f16 v117, v39, 0x36a6, -v79
	v_fmac_f16_e32 v79, 0x36a6, v39
	v_fma_f16 v118, v39, 0xb93d, -v80
	v_fmac_f16_e32 v80, 0xb93d, v39
	v_fma_f16 v119, v39, 0x3abb, -v81
	v_fmac_f16_e32 v81, 0x3abb, v39
	v_fma_f16 v120, v39, 0xbbad, -v38
	v_fmac_f16_e32 v38, 0xbbad, v39
	v_add_f16_e32 v18, v16, v82
	v_add_f16_e32 v39, v16, v89
	;; [unrolled: 1-line block ×110, first 2 shown]
	v_pack_b32_f16 v7, v29, v30
	v_add_f16_e32 v3, v3, v6
	v_add_f16_e32 v2, v2, v4
	v_pack_b32_f16 v5, v22, v20
	v_pack_b32_f16 v20, v25, v23
	v_pack_b32_f16 v16, v21, v16
	v_pack_b32_f16 v15, v15, v18
	v_pack_b32_f16 v8, v10, v8
	v_pack_b32_f16 v4, v12, v11
	v_pack_b32_f16 v6, v17, v14
	v_pack_b32_f16 v10, v24, v19
	v_pack_b32_f16 v9, v9, v13
	v_pack_b32_f16 v2, v3, v2
	s_clause 0xa
	global_store_b32 v[0:1], v7, off offset:264
	global_store_b32 v[0:1], v20, off offset:396
	;; [unrolled: 1-line block ×7, first 2 shown]
	global_store_b32 v[0:1], v2, off
	global_store_b32 v[0:1], v6, off offset:1056
	global_store_b32 v[0:1], v10, off offset:1188
	;; [unrolled: 1-line block ×3, first 2 shown]
.LBB0_22:
	s_nop 0
	s_sendmsg sendmsg(MSG_DEALLOC_VGPRS)
	s_endpgm
	.section	.rodata,"a",@progbits
	.p2align	6, 0x0
	.amdhsa_kernel fft_rtc_fwd_len363_factors_11_3_11_wgs_99_tpt_33_halfLds_half_op_CI_CI_unitstride_sbrr_dirReg
		.amdhsa_group_segment_fixed_size 0
		.amdhsa_private_segment_fixed_size 0
		.amdhsa_kernarg_size 104
		.amdhsa_user_sgpr_count 15
		.amdhsa_user_sgpr_dispatch_ptr 0
		.amdhsa_user_sgpr_queue_ptr 0
		.amdhsa_user_sgpr_kernarg_segment_ptr 1
		.amdhsa_user_sgpr_dispatch_id 0
		.amdhsa_user_sgpr_private_segment_size 0
		.amdhsa_wavefront_size32 1
		.amdhsa_uses_dynamic_stack 0
		.amdhsa_enable_private_segment 0
		.amdhsa_system_sgpr_workgroup_id_x 1
		.amdhsa_system_sgpr_workgroup_id_y 0
		.amdhsa_system_sgpr_workgroup_id_z 0
		.amdhsa_system_sgpr_workgroup_info 0
		.amdhsa_system_vgpr_workitem_id 0
		.amdhsa_next_free_vgpr 121
		.amdhsa_next_free_sgpr 27
		.amdhsa_reserve_vcc 1
		.amdhsa_float_round_mode_32 0
		.amdhsa_float_round_mode_16_64 0
		.amdhsa_float_denorm_mode_32 3
		.amdhsa_float_denorm_mode_16_64 3
		.amdhsa_dx10_clamp 1
		.amdhsa_ieee_mode 1
		.amdhsa_fp16_overflow 0
		.amdhsa_workgroup_processor_mode 1
		.amdhsa_memory_ordered 1
		.amdhsa_forward_progress 0
		.amdhsa_shared_vgpr_count 0
		.amdhsa_exception_fp_ieee_invalid_op 0
		.amdhsa_exception_fp_denorm_src 0
		.amdhsa_exception_fp_ieee_div_zero 0
		.amdhsa_exception_fp_ieee_overflow 0
		.amdhsa_exception_fp_ieee_underflow 0
		.amdhsa_exception_fp_ieee_inexact 0
		.amdhsa_exception_int_div_zero 0
	.end_amdhsa_kernel
	.text
.Lfunc_end0:
	.size	fft_rtc_fwd_len363_factors_11_3_11_wgs_99_tpt_33_halfLds_half_op_CI_CI_unitstride_sbrr_dirReg, .Lfunc_end0-fft_rtc_fwd_len363_factors_11_3_11_wgs_99_tpt_33_halfLds_half_op_CI_CI_unitstride_sbrr_dirReg
                                        ; -- End function
	.section	.AMDGPU.csdata,"",@progbits
; Kernel info:
; codeLenInByte = 8360
; NumSgprs: 29
; NumVgprs: 121
; ScratchSize: 0
; MemoryBound: 0
; FloatMode: 240
; IeeeMode: 1
; LDSByteSize: 0 bytes/workgroup (compile time only)
; SGPRBlocks: 3
; VGPRBlocks: 15
; NumSGPRsForWavesPerEU: 29
; NumVGPRsForWavesPerEU: 121
; Occupancy: 10
; WaveLimiterHint : 1
; COMPUTE_PGM_RSRC2:SCRATCH_EN: 0
; COMPUTE_PGM_RSRC2:USER_SGPR: 15
; COMPUTE_PGM_RSRC2:TRAP_HANDLER: 0
; COMPUTE_PGM_RSRC2:TGID_X_EN: 1
; COMPUTE_PGM_RSRC2:TGID_Y_EN: 0
; COMPUTE_PGM_RSRC2:TGID_Z_EN: 0
; COMPUTE_PGM_RSRC2:TIDIG_COMP_CNT: 0
	.text
	.p2alignl 7, 3214868480
	.fill 96, 4, 3214868480
	.type	__hip_cuid_ef585948ddce1da,@object ; @__hip_cuid_ef585948ddce1da
	.section	.bss,"aw",@nobits
	.globl	__hip_cuid_ef585948ddce1da
__hip_cuid_ef585948ddce1da:
	.byte	0                               ; 0x0
	.size	__hip_cuid_ef585948ddce1da, 1

	.ident	"AMD clang version 19.0.0git (https://github.com/RadeonOpenCompute/llvm-project roc-6.4.0 25133 c7fe45cf4b819c5991fe208aaa96edf142730f1d)"
	.section	".note.GNU-stack","",@progbits
	.addrsig
	.addrsig_sym __hip_cuid_ef585948ddce1da
	.amdgpu_metadata
---
amdhsa.kernels:
  - .args:
      - .actual_access:  read_only
        .address_space:  global
        .offset:         0
        .size:           8
        .value_kind:     global_buffer
      - .offset:         8
        .size:           8
        .value_kind:     by_value
      - .actual_access:  read_only
        .address_space:  global
        .offset:         16
        .size:           8
        .value_kind:     global_buffer
      - .actual_access:  read_only
        .address_space:  global
        .offset:         24
        .size:           8
        .value_kind:     global_buffer
      - .actual_access:  read_only
        .address_space:  global
        .offset:         32
        .size:           8
        .value_kind:     global_buffer
      - .offset:         40
        .size:           8
        .value_kind:     by_value
      - .actual_access:  read_only
        .address_space:  global
        .offset:         48
        .size:           8
        .value_kind:     global_buffer
      - .actual_access:  read_only
        .address_space:  global
        .offset:         56
        .size:           8
        .value_kind:     global_buffer
      - .offset:         64
        .size:           4
        .value_kind:     by_value
      - .actual_access:  read_only
        .address_space:  global
        .offset:         72
        .size:           8
        .value_kind:     global_buffer
      - .actual_access:  read_only
        .address_space:  global
        .offset:         80
        .size:           8
        .value_kind:     global_buffer
      - .actual_access:  read_only
        .address_space:  global
        .offset:         88
        .size:           8
        .value_kind:     global_buffer
      - .actual_access:  write_only
        .address_space:  global
        .offset:         96
        .size:           8
        .value_kind:     global_buffer
    .group_segment_fixed_size: 0
    .kernarg_segment_align: 8
    .kernarg_segment_size: 104
    .language:       OpenCL C
    .language_version:
      - 2
      - 0
    .max_flat_workgroup_size: 99
    .name:           fft_rtc_fwd_len363_factors_11_3_11_wgs_99_tpt_33_halfLds_half_op_CI_CI_unitstride_sbrr_dirReg
    .private_segment_fixed_size: 0
    .sgpr_count:     29
    .sgpr_spill_count: 0
    .symbol:         fft_rtc_fwd_len363_factors_11_3_11_wgs_99_tpt_33_halfLds_half_op_CI_CI_unitstride_sbrr_dirReg.kd
    .uniform_work_group_size: 1
    .uses_dynamic_stack: false
    .vgpr_count:     121
    .vgpr_spill_count: 0
    .wavefront_size: 32
    .workgroup_processor_mode: 1
amdhsa.target:   amdgcn-amd-amdhsa--gfx1100
amdhsa.version:
  - 1
  - 2
...

	.end_amdgpu_metadata
